;; amdgpu-corpus repo=ROCm/rocFFT kind=compiled arch=gfx906 opt=O3
	.text
	.amdgcn_target "amdgcn-amd-amdhsa--gfx906"
	.amdhsa_code_object_version 6
	.protected	bluestein_single_back_len288_dim1_dp_op_CI_CI ; -- Begin function bluestein_single_back_len288_dim1_dp_op_CI_CI
	.globl	bluestein_single_back_len288_dim1_dp_op_CI_CI
	.p2align	8
	.type	bluestein_single_back_len288_dim1_dp_op_CI_CI,@function
bluestein_single_back_len288_dim1_dp_op_CI_CI: ; @bluestein_single_back_len288_dim1_dp_op_CI_CI
; %bb.0:
	v_mul_u32_u24_e32 v1, 0xaab, v0
	s_load_dwordx4 s[16:19], s[4:5], 0x28
	v_lshrrev_b32_e32 v1, 16, v1
	v_mad_u64_u32 v[148:149], s[0:1], s6, 5, v[1:2]
	v_mov_b32_e32 v149, 0
	s_waitcnt lgkmcnt(0)
	v_cmp_gt_u64_e32 vcc, s[16:17], v[148:149]
	s_and_saveexec_b64 s[0:1], vcc
	s_cbranch_execz .LBB0_2
; %bb.1:
	s_load_dwordx4 s[0:3], s[4:5], 0x18
	s_load_dwordx4 s[8:11], s[4:5], 0x0
	v_mul_lo_u16_e32 v1, 24, v1
	v_sub_u16_e32 v153, v0, v1
	v_or_b32_e32 v152, 0x60, v153
	s_waitcnt lgkmcnt(0)
	s_load_dwordx4 s[12:15], s[0:1], 0x0
	v_lshlrev_b32_e32 v136, 4, v153
	v_mov_b32_e32 v151, 0x600
	v_or_b32_e32 v154, 0xc0, v153
	v_mov_b32_e32 v155, 0xfffff280
	s_waitcnt lgkmcnt(0)
	v_mad_u64_u32 v[0:1], s[0:1], s14, v148, 0
	v_mad_u64_u32 v[2:3], s[0:1], s12, v153, 0
	s_mul_i32 s6, s13, 0x300
	s_mul_hi_u32 s7, s12, 0x300
	v_mad_u64_u32 v[4:5], s[0:1], s15, v148, v[1:2]
	s_mul_i32 s14, s13, 0x600
	s_movk_i32 s16, 0x50
	v_mad_u64_u32 v[5:6], s[0:1], s13, v153, v[3:4]
	v_mov_b32_e32 v1, v4
	v_lshlrev_b64 v[0:1], 4, v[0:1]
	v_mov_b32_e32 v6, s19
	v_mov_b32_e32 v3, v5
	v_add_co_u32_e32 v22, vcc, s18, v0
	v_addc_co_u32_e32 v23, vcc, v6, v1, vcc
	v_lshlrev_b64 v[0:1], 4, v[2:3]
	v_mad_u64_u32 v[6:7], s[0:1], s12, v152, 0
	v_add_co_u32_e32 v4, vcc, v22, v0
	v_addc_co_u32_e32 v5, vcc, v23, v1, vcc
	v_mov_b32_e32 v0, s9
	v_add_co_u32_e32 v158, vcc, s8, v136
	v_addc_co_u32_e32 v159, vcc, 0, v0, vcc
	s_add_i32 s0, s7, s6
	s_mul_i32 s1, s12, 0x300
	v_mad_u64_u32 v[7:8], s[6:7], s13, v152, v[7:8]
	v_mov_b32_e32 v9, s0
	v_add_co_u32_e32 v12, vcc, s1, v4
	v_addc_co_u32_e32 v13, vcc, v5, v9, vcc
	v_mad_u64_u32 v[16:17], s[6:7], s12, v154, 0
	v_mad_u64_u32 v[18:19], s[6:7], s12, v151, v[12:13]
	global_load_dwordx4 v[48:51], v[4:5], off
	v_lshlrev_b64 v[4:5], 4, v[6:7]
	global_load_dwordx4 v[0:3], v136, s[8:9]
	global_load_dwordx4 v[8:11], v136, s[8:9] offset:768
	v_add_co_u32_e32 v14, vcc, v22, v4
	v_addc_co_u32_e32 v15, vcc, v23, v5, vcc
	global_load_dwordx4 v[52:55], v[12:13], off
	global_load_dwordx4 v[56:59], v[14:15], off
	global_load_dwordx4 v[4:7], v136, s[8:9] offset:1536
	v_mov_b32_e32 v12, v17
	v_add_u32_e32 v19, s14, v19
	v_mad_u64_u32 v[20:21], s[6:7], s13, v154, v[12:13]
	global_load_dwordx4 v[60:63], v[18:19], off
	global_load_dwordx4 v[12:15], v136, s[8:9] offset:2304
	v_mad_u64_u32 v[28:29], s[6:7], s12, v151, v[18:19]
	v_mov_b32_e32 v17, v20
	v_lshlrev_b64 v[16:17], 4, v[16:17]
	v_add_u32_e32 v29, s14, v29
	v_mad_u64_u32 v[30:31], s[6:7], s12, v155, v[28:29]
	v_add_co_u32_e32 v20, vcc, v22, v16
	s_mul_i32 s6, s13, 0xfffff280
	v_addc_co_u32_e32 v21, vcc, v23, v17, vcc
	s_sub_i32 s6, s6, s12
	global_load_dwordx4 v[64:67], v[20:21], off
	global_load_dwordx4 v[16:19], v136, s[8:9] offset:3072
	v_add_u32_e32 v31, s6, v31
	global_load_dwordx4 v[20:23], v136, s[8:9] offset:3840
	global_load_dwordx4 v[68:71], v[28:29], off
	global_load_dwordx4 v[72:75], v[30:31], off
	global_load_dwordx4 v[24:27], v136, s[8:9] offset:384
	v_mov_b32_e32 v28, s0
	v_add_co_u32_e32 v32, vcc, s1, v30
	v_addc_co_u32_e32 v33, vcc, v31, v28, vcc
	v_mov_b32_e32 v34, s0
	v_add_co_u32_e32 v36, vcc, s1, v32
	v_addc_co_u32_e32 v37, vcc, v33, v34, vcc
	global_load_dwordx4 v[76:79], v[32:33], off
	global_load_dwordx4 v[28:31], v136, s[8:9] offset:1152
	v_mov_b32_e32 v38, s0
	v_add_co_u32_e32 v40, vcc, s1, v36
	v_addc_co_u32_e32 v41, vcc, v37, v38, vcc
	v_mov_b32_e32 v42, s0
	v_add_co_u32_e32 v44, vcc, s1, v40
	v_addc_co_u32_e32 v45, vcc, v41, v42, vcc
	global_load_dwordx4 v[80:83], v[36:37], off
	global_load_dwordx4 v[32:35], v136, s[8:9] offset:1920
	global_load_dwordx4 v[84:87], v[40:41], off
	s_nop 0
	global_load_dwordx4 v[36:39], v136, s[8:9] offset:2688
	global_load_dwordx4 v[88:91], v[44:45], off
	global_load_dwordx4 v[40:43], v136, s[8:9] offset:3456
	v_mov_b32_e32 v46, s0
	v_add_co_u32_e32 v44, vcc, s1, v44
	v_addc_co_u32_e32 v45, vcc, v45, v46, vcc
	s_movk_i32 s12, 0x1000
	v_add_co_u32_e32 v149, vcc, s12, v158
	v_addc_co_u32_e32 v150, vcc, 0, v159, vcc
	global_load_dwordx4 v[92:95], v[44:45], off
	s_mov_b32 s0, 0xcccccccd
	global_load_dwordx4 v[44:47], v[149:150], off offset:128
	v_mul_hi_u32 v96, v148, s0
	s_load_dwordx4 s[0:3], s[2:3], 0x0
	s_mov_b32 s6, 0xe8584caa
	s_mov_b32 s7, 0x3febb67a
	v_lshrrev_b32_e32 v96, 2, v96
	v_lshl_add_u32 v96, v96, 2, v96
	v_sub_u32_e32 v96, v148, v96
	v_mul_u32_u24_e32 v124, 0x120, v96
	v_lshl_add_u32 v156, v124, 4, v136
	s_mov_b32 s9, 0xbfebb67a
	s_mov_b32 s8, s6
	s_movk_i32 s13, 0xab
	s_load_dwordx2 s[4:5], s[4:5], 0x38
	s_waitcnt vmcnt(22)
	v_mul_f64 v[96:97], v[50:51], v[2:3]
	v_mul_f64 v[98:99], v[48:49], v[2:3]
	s_waitcnt vmcnt(20)
	v_mul_f64 v[100:101], v[54:55], v[10:11]
	v_mul_f64 v[102:103], v[52:53], v[10:11]
	s_waitcnt vmcnt(18)
	v_mul_f64 v[104:105], v[58:59], v[6:7]
	v_mul_f64 v[106:107], v[56:57], v[6:7]
	v_fma_f64 v[48:49], v[48:49], v[0:1], v[96:97]
	v_fma_f64 v[50:51], v[50:51], v[0:1], -v[98:99]
	v_or_b32_e32 v96, v124, v153
	s_waitcnt vmcnt(16)
	v_mul_f64 v[108:109], v[62:63], v[14:15]
	v_mul_f64 v[110:111], v[60:61], v[14:15]
	v_fma_f64 v[52:53], v[52:53], v[8:9], v[100:101]
	v_fma_f64 v[54:55], v[54:55], v[8:9], -v[102:103]
	v_fma_f64 v[56:57], v[56:57], v[4:5], v[104:105]
	v_fma_f64 v[58:59], v[58:59], v[4:5], -v[106:107]
	v_lshlrev_b32_e32 v157, 4, v96
	ds_write_b128 v157, v[48:51]
	v_fma_f64 v[60:61], v[60:61], v[12:13], v[108:109]
	v_fma_f64 v[62:63], v[62:63], v[12:13], -v[110:111]
	ds_write_b128 v156, v[52:55] offset:768
	ds_write_b128 v156, v[56:59] offset:1536
	;; [unrolled: 1-line block ×3, first 2 shown]
	s_waitcnt vmcnt(14)
	v_mul_f64 v[48:49], v[66:67], v[18:19]
	v_mul_f64 v[50:51], v[64:65], v[18:19]
	s_waitcnt vmcnt(12)
	v_mul_f64 v[52:53], v[70:71], v[22:23]
	v_mul_f64 v[54:55], v[68:69], v[22:23]
	;; [unrolled: 3-line block ×3, first 2 shown]
	v_fma_f64 v[48:49], v[64:65], v[16:17], v[48:49]
	v_fma_f64 v[50:51], v[66:67], v[16:17], -v[50:51]
	v_fma_f64 v[52:53], v[68:69], v[20:21], v[52:53]
	v_fma_f64 v[54:55], v[70:71], v[20:21], -v[54:55]
	s_waitcnt vmcnt(8)
	v_mul_f64 v[60:61], v[78:79], v[30:31]
	v_mul_f64 v[62:63], v[76:77], v[30:31]
	v_fma_f64 v[56:57], v[72:73], v[24:25], v[56:57]
	v_fma_f64 v[58:59], v[74:75], v[24:25], -v[58:59]
	v_fma_f64 v[60:61], v[76:77], v[28:29], v[60:61]
	v_fma_f64 v[62:63], v[78:79], v[28:29], -v[62:63]
	s_waitcnt vmcnt(6)
	v_mul_f64 v[64:65], v[82:83], v[34:35]
	v_mul_f64 v[66:67], v[80:81], v[34:35]
	s_waitcnt vmcnt(4)
	v_mul_f64 v[68:69], v[86:87], v[38:39]
	v_mul_f64 v[70:71], v[84:85], v[38:39]
	;; [unrolled: 3-line block ×3, first 2 shown]
	v_fma_f64 v[64:65], v[80:81], v[32:33], v[64:65]
	v_fma_f64 v[66:67], v[82:83], v[32:33], -v[66:67]
	v_fma_f64 v[68:69], v[84:85], v[36:37], v[68:69]
	v_fma_f64 v[70:71], v[86:87], v[36:37], -v[70:71]
	;; [unrolled: 2-line block ×3, first 2 shown]
	s_waitcnt vmcnt(0)
	v_mul_f64 v[76:77], v[94:95], v[46:47]
	v_mul_f64 v[78:79], v[92:93], v[46:47]
	v_fma_f64 v[76:77], v[92:93], v[44:45], v[76:77]
	v_fma_f64 v[78:79], v[94:95], v[44:45], -v[78:79]
	ds_write_b128 v156, v[48:51] offset:3072
	ds_write_b128 v156, v[52:55] offset:3840
	;; [unrolled: 1-line block ×8, first 2 shown]
	s_waitcnt lgkmcnt(0)
	s_barrier
	ds_read_b128 v[48:51], v156 offset:1536
	ds_read_b128 v[52:55], v156 offset:3072
	;; [unrolled: 1-line block ×3, first 2 shown]
	ds_read_b128 v[60:63], v157
	ds_read_b128 v[64:67], v156 offset:384
	ds_read_b128 v[68:71], v156 offset:1920
	;; [unrolled: 1-line block ×4, first 2 shown]
	s_waitcnt lgkmcnt(6)
	v_add_f64 v[98:99], v[48:49], v[52:53]
	ds_read_b128 v[80:83], v156 offset:2688
	ds_read_b128 v[84:87], v156 offset:4224
	;; [unrolled: 1-line block ×4, first 2 shown]
	s_waitcnt lgkmcnt(8)
	v_add_f64 v[96:97], v[60:61], v[48:49]
	s_waitcnt lgkmcnt(4)
	v_add_f64 v[100:101], v[76:77], v[56:57]
	v_add_f64 v[102:103], v[78:79], v[58:59]
	v_add_f64 v[104:105], v[76:77], -v[56:57]
	v_add_f64 v[106:107], v[78:79], -v[58:59]
	v_fma_f64 v[60:61], v[98:99], -0.5, v[60:61]
	v_add_f64 v[98:99], v[50:51], -v[54:55]
	v_add_f64 v[108:109], v[50:51], v[54:55]
	v_add_f64 v[50:51], v[62:63], v[50:51]
	s_waitcnt lgkmcnt(1)
	v_fma_f64 v[100:101], v[100:101], -0.5, v[88:89]
	v_fma_f64 v[102:103], v[102:103], -0.5, v[90:91]
	v_add_f64 v[96:97], v[96:97], v[52:53]
	v_add_f64 v[48:49], v[48:49], -v[52:53]
	v_add_f64 v[116:117], v[68:69], v[72:73]
	v_fma_f64 v[110:111], v[98:99], s[6:7], v[60:61]
	v_fma_f64 v[98:99], v[98:99], s[8:9], v[60:61]
	v_fma_f64 v[62:63], v[108:109], -0.5, v[62:63]
	v_fma_f64 v[112:113], v[106:107], s[8:9], v[100:101]
	v_fma_f64 v[60:61], v[104:105], s[8:9], v[102:103]
	;; [unrolled: 1-line block ×4, first 2 shown]
	v_add_f64 v[104:105], v[50:51], v[54:55]
	v_add_f64 v[50:51], v[88:89], v[76:77]
	;; [unrolled: 1-line block ×3, first 2 shown]
	v_fma_f64 v[90:91], v[48:49], s[8:9], v[62:63]
	v_mul_f64 v[54:55], v[112:113], -0.5
	v_mul_f64 v[52:53], v[60:61], s[6:7]
	v_mul_f64 v[78:79], v[100:101], s[8:9]
	v_mul_f64 v[88:89], v[102:103], -0.5
	v_fma_f64 v[106:107], v[48:49], s[6:7], v[62:63]
	v_add_f64 v[62:63], v[50:51], v[56:57]
	v_add_f64 v[118:119], v[80:81], v[84:85]
	;; [unrolled: 1-line block ×4, first 2 shown]
	v_fma_f64 v[108:109], v[100:101], 0.5, v[52:53]
	v_fma_f64 v[101:102], v[102:103], s[6:7], v[54:55]
	v_fma_f64 v[78:79], v[60:61], 0.5, v[78:79]
	v_fma_f64 v[112:113], v[112:113], s[8:9], v[88:89]
	v_add_f64 v[48:49], v[96:97], v[62:63]
	v_add_f64 v[60:61], v[96:97], -v[62:63]
	v_add_f64 v[96:97], v[64:65], v[68:69]
	v_fma_f64 v[64:65], v[116:117], -0.5, v[64:65]
	v_add_f64 v[52:53], v[110:111], v[108:109]
	v_add_f64 v[56:57], v[98:99], v[101:102]
	v_add_f64 v[76:77], v[110:111], -v[108:109]
	v_add_f64 v[88:89], v[98:99], -v[101:102]
	;; [unrolled: 1-line block ×3, first 2 shown]
	s_waitcnt lgkmcnt(0)
	v_fma_f64 v[101:102], v[118:119], -0.5, v[92:93]
	v_fma_f64 v[108:109], v[120:121], -0.5, v[94:95]
	v_add_f64 v[110:111], v[80:81], -v[84:85]
	v_add_f64 v[116:117], v[82:83], -v[86:87]
	v_add_f64 v[118:119], v[70:71], v[74:75]
	v_add_f64 v[70:71], v[66:67], v[70:71]
	;; [unrolled: 1-line block ×3, first 2 shown]
	v_add_f64 v[62:63], v[104:105], -v[114:115]
	v_fma_f64 v[103:104], v[98:99], s[6:7], v[64:65]
	v_fma_f64 v[98:99], v[98:99], s[8:9], v[64:65]
	;; [unrolled: 1-line block ×6, first 2 shown]
	v_add_f64 v[110:111], v[70:71], v[74:75]
	v_add_f64 v[70:71], v[92:93], v[80:81]
	;; [unrolled: 1-line block ×4, first 2 shown]
	v_fma_f64 v[66:67], v[118:119], -0.5, v[66:67]
	v_add_f64 v[68:69], v[68:69], -v[72:73]
	v_mul_f64 v[72:73], v[64:65], s[6:7]
	v_mul_f64 v[82:83], v[101:102], s[8:9]
	v_mul_f64 v[74:75], v[114:115], -0.5
	v_mul_f64 v[92:93], v[108:109], -0.5
	v_add_f64 v[84:85], v[70:71], v[84:85]
	v_add_f64 v[54:55], v[90:91], v[78:79]
	;; [unrolled: 1-line block ×4, first 2 shown]
	v_fma_f64 v[94:95], v[68:69], s[8:9], v[66:67]
	v_fma_f64 v[101:102], v[101:102], 0.5, v[72:73]
	v_fma_f64 v[118:119], v[64:65], 0.5, v[82:83]
	v_fma_f64 v[116:117], v[68:69], s[6:7], v[66:67]
	v_fma_f64 v[108:109], v[108:109], s[6:7], v[74:75]
	;; [unrolled: 1-line block ×3, first 2 shown]
	v_add_f64 v[78:79], v[90:91], -v[78:79]
	v_add_f64 v[90:91], v[106:107], -v[112:113]
	v_add_f64 v[64:65], v[96:97], v[84:85]
	v_add_f64 v[80:81], v[96:97], -v[84:85]
	v_mul_lo_u16_e32 v96, 6, v153
	v_add_co_u32_e32 v100, vcc, 24, v153
	v_add_lshl_u32 v160, v124, v96, 4
	s_barrier
	ds_write_b128 v160, v[48:51]
	ds_write_b128 v160, v[52:55] offset:16
	ds_write_b128 v160, v[56:59] offset:32
	;; [unrolled: 1-line block ×5, first 2 shown]
	v_mul_u32_u24_e32 v48, 6, v100
	v_add_lshl_u32 v161, v124, v48, 4
	v_mul_lo_u16_sdwa v48, v153, s13 dst_sel:DWORD dst_unused:UNUSED_PAD src0_sel:BYTE_0 src1_sel:DWORD
	v_add_f64 v[66:67], v[110:111], v[86:87]
	v_lshrrev_b16_e32 v123, 10, v48
	v_add_f64 v[68:69], v[103:104], v[101:102]
	v_add_f64 v[70:71], v[94:95], v[118:119]
	v_mul_lo_u16_e32 v48, 6, v123
	v_add_f64 v[72:73], v[98:99], v[108:109]
	v_add_f64 v[74:75], v[116:117], v[114:115]
	v_sub_u16_e32 v135, v153, v48
	v_mov_b32_e32 v57, s11
	v_add_f64 v[82:83], v[110:111], -v[86:87]
	v_and_b32_e32 v48, 0xff, v135
	v_mov_b32_e32 v56, s10
	v_add_f64 v[84:85], v[103:104], -v[101:102]
	v_add_f64 v[86:87], v[94:95], -v[118:119]
	v_mad_u64_u32 v[88:89], s[14:15], v48, s16, v[56:57]
	v_add_f64 v[92:93], v[98:99], -v[108:109]
	v_add_f64 v[94:95], v[116:117], -v[114:115]
	ds_write_b128 v161, v[64:67]
	ds_write_b128 v161, v[68:71] offset:16
	ds_write_b128 v161, v[72:75] offset:32
	;; [unrolled: 1-line block ×5, first 2 shown]
	s_waitcnt lgkmcnt(0)
	s_barrier
	global_load_dwordx4 v[64:67], v[88:89], off
	global_load_dwordx4 v[60:63], v[88:89], off offset:16
	global_load_dwordx4 v[52:55], v[88:89], off offset:32
	;; [unrolled: 1-line block ×3, first 2 shown]
	v_mul_lo_u16_sdwa v58, v100, s13 dst_sel:DWORD dst_unused:UNUSED_PAD src0_sel:BYTE_0 src1_sel:DWORD
	v_lshrrev_b16_e32 v147, 10, v58
	v_mul_lo_u16_e32 v58, 6, v147
	v_sub_u16_e32 v58, v100, v58
	v_and_b32_e32 v178, 0xff, v58
	v_mad_u64_u32 v[90:91], s[14:15], v178, s16, v[56:57]
	global_load_dwordx4 v[76:79], v[88:89], off offset:64
	global_load_dwordx4 v[84:87], v[90:91], off
	global_load_dwordx4 v[80:83], v[90:91], off offset:16
	global_load_dwordx4 v[72:75], v[90:91], off offset:32
	;; [unrolled: 1-line block ×4, first 2 shown]
	ds_read_b128 v[88:91], v157
	ds_read_b128 v[92:95], v156 offset:384
	ds_read_b128 v[96:99], v156 offset:768
	;; [unrolled: 1-line block ×11, first 2 shown]
	s_waitcnt vmcnt(0) lgkmcnt(0)
	s_barrier
	v_cmp_gt_u16_e32 vcc, 12, v153
	v_mul_f64 v[121:122], v[98:99], v[66:67]
	v_mul_f64 v[133:134], v[96:97], v[66:67]
	;; [unrolled: 1-line block ×5, first 2 shown]
	v_fma_f64 v[96:97], v[96:97], v[64:65], -v[121:122]
	v_fma_f64 v[98:99], v[98:99], v[64:65], v[133:134]
	v_mul_f64 v[121:122], v[113:114], v[54:55]
	v_mul_f64 v[133:134], v[127:128], v[50:51]
	v_fma_f64 v[105:106], v[105:106], v[60:61], -v[145:146]
	v_mul_f64 v[145:146], v[125:126], v[50:51]
	v_fma_f64 v[107:108], v[107:108], v[60:61], v[162:163]
	v_fma_f64 v[113:114], v[113:114], v[52:53], -v[164:165]
	v_mul_f64 v[162:163], v[139:140], v[78:79]
	v_mul_f64 v[164:165], v[137:138], v[78:79]
	v_fma_f64 v[115:116], v[115:116], v[52:53], v[121:122]
	v_fma_f64 v[121:122], v[125:126], v[48:49], -v[133:134]
	v_mul_f64 v[125:126], v[103:104], v[86:87]
	v_mul_f64 v[133:134], v[101:102], v[86:87]
	v_fma_f64 v[127:128], v[127:128], v[48:49], v[145:146]
	v_mul_f64 v[145:146], v[111:112], v[82:83]
	v_fma_f64 v[137:138], v[137:138], v[76:77], -v[162:163]
	v_fma_f64 v[139:140], v[139:140], v[76:77], v[164:165]
	v_mul_f64 v[162:163], v[109:110], v[82:83]
	v_mul_f64 v[164:165], v[119:120], v[74:75]
	v_fma_f64 v[125:126], v[101:102], v[84:85], -v[125:126]
	v_mul_f64 v[101:102], v[117:118], v[74:75]
	v_fma_f64 v[133:134], v[103:104], v[84:85], v[133:134]
	v_mul_f64 v[103:104], v[131:132], v[70:71]
	v_fma_f64 v[145:146], v[109:110], v[80:81], -v[145:146]
	v_mul_f64 v[109:110], v[129:130], v[70:71]
	v_fma_f64 v[111:112], v[111:112], v[80:81], v[162:163]
	v_fma_f64 v[117:118], v[117:118], v[72:73], -v[164:165]
	v_add_f64 v[162:163], v[105:106], v[121:122]
	v_fma_f64 v[119:120], v[119:120], v[72:73], v[101:102]
	v_add_f64 v[101:102], v[113:114], v[137:138]
	v_add_f64 v[164:165], v[115:116], v[139:140]
	v_fma_f64 v[129:130], v[129:130], v[68:69], -v[103:104]
	v_mul_f64 v[103:104], v[143:144], v[58:59]
	v_fma_f64 v[131:132], v[131:132], v[68:69], v[109:110]
	v_add_f64 v[109:110], v[88:89], v[105:106]
	v_fma_f64 v[88:89], v[162:163], -0.5, v[88:89]
	v_add_f64 v[162:163], v[107:108], -v[127:128]
	v_fma_f64 v[101:102], v[101:102], -0.5, v[96:97]
	v_fma_f64 v[164:165], v[164:165], -0.5, v[98:99]
	v_add_f64 v[166:167], v[113:114], -v[137:138]
	v_add_f64 v[168:169], v[115:116], -v[139:140]
	v_fma_f64 v[170:171], v[141:142], v[56:57], -v[103:104]
	v_mul_f64 v[103:104], v[141:142], v[58:59]
	v_add_f64 v[141:142], v[107:108], v[127:128]
	v_fma_f64 v[172:173], v[162:163], s[6:7], v[88:89]
	v_fma_f64 v[162:163], v[162:163], s[8:9], v[88:89]
	v_add_f64 v[107:108], v[90:91], v[107:108]
	v_fma_f64 v[88:89], v[166:167], s[8:9], v[164:165]
	v_fma_f64 v[174:175], v[168:169], s[8:9], v[101:102]
	v_add_f64 v[109:110], v[109:110], v[121:122]
	v_fma_f64 v[101:102], v[168:169], s[6:7], v[101:102]
	v_fma_f64 v[90:91], v[141:142], -0.5, v[90:91]
	v_fma_f64 v[141:142], v[166:167], s[6:7], v[164:165]
	v_add_f64 v[105:106], v[105:106], -v[121:122]
	v_add_f64 v[96:97], v[96:97], v[113:114]
	v_mul_f64 v[113:114], v[88:89], s[6:7]
	v_mul_f64 v[121:122], v[174:175], -0.5
	v_add_f64 v[107:108], v[107:108], v[127:128]
	v_fma_f64 v[143:144], v[143:144], v[56:57], v[103:104]
	v_add_f64 v[98:99], v[98:99], v[115:116]
	v_mul_f64 v[127:128], v[141:142], -0.5
	v_mul_f64 v[115:116], v[101:102], s[8:9]
	v_add_f64 v[137:138], v[96:97], v[137:138]
	v_fma_f64 v[113:114], v[101:102], 0.5, v[113:114]
	v_fma_f64 v[121:122], v[141:142], s[6:7], v[121:122]
	v_add_f64 v[166:167], v[145:146], v[129:130]
	v_add_f64 v[168:169], v[117:118], v[170:171]
	v_fma_f64 v[164:165], v[105:106], s[8:9], v[90:91]
	v_fma_f64 v[127:128], v[174:175], s[8:9], v[127:128]
	v_add_f64 v[174:175], v[119:120], v[143:144]
	v_add_f64 v[139:140], v[98:99], v[139:140]
	v_fma_f64 v[115:116], v[88:89], 0.5, v[115:116]
	v_fma_f64 v[141:142], v[105:106], s[6:7], v[90:91]
	v_add_f64 v[88:89], v[109:110], v[137:138]
	v_add_f64 v[96:97], v[172:173], v[113:114]
	;; [unrolled: 1-line block ×3, first 2 shown]
	v_add_f64 v[105:106], v[109:110], -v[137:138]
	v_add_f64 v[109:110], v[172:173], -v[113:114]
	;; [unrolled: 1-line block ×3, first 2 shown]
	v_add_f64 v[121:122], v[92:93], v[145:146]
	v_fma_f64 v[92:93], v[166:167], -0.5, v[92:93]
	v_add_f64 v[137:138], v[111:112], -v[131:132]
	v_fma_f64 v[162:163], v[168:169], -0.5, v[125:126]
	v_fma_f64 v[166:167], v[174:175], -0.5, v[133:134]
	v_add_f64 v[168:169], v[117:118], -v[170:171]
	v_add_f64 v[172:173], v[119:120], -v[143:144]
	v_add_f64 v[174:175], v[111:112], v[131:132]
	v_add_f64 v[111:112], v[94:95], v[111:112]
	;; [unrolled: 1-line block ×3, first 2 shown]
	v_add_f64 v[107:108], v[107:108], -v[139:140]
	v_fma_f64 v[139:140], v[137:138], s[6:7], v[92:93]
	v_fma_f64 v[176:177], v[137:138], s[8:9], v[92:93]
	;; [unrolled: 1-line block ×6, first 2 shown]
	v_add_f64 v[121:122], v[121:122], v[129:130]
	v_fma_f64 v[94:95], v[174:175], -0.5, v[94:95]
	v_add_f64 v[129:130], v[145:146], -v[129:130]
	v_add_f64 v[131:132], v[111:112], v[131:132]
	v_add_f64 v[111:112], v[125:126], v[117:118]
	;; [unrolled: 1-line block ×3, first 2 shown]
	v_mul_f64 v[117:118], v[92:93], s[6:7]
	v_mul_f64 v[133:134], v[162:163], s[8:9]
	v_mul_f64 v[125:126], v[137:138], -0.5
	v_mul_f64 v[145:146], v[166:167], -0.5
	v_fma_f64 v[168:169], v[129:130], s[8:9], v[94:95]
	v_fma_f64 v[172:173], v[129:130], s[6:7], v[94:95]
	v_add_f64 v[129:130], v[111:112], v[170:171]
	v_add_f64 v[143:144], v[119:120], v[143:144]
	v_fma_f64 v[162:163], v[162:163], 0.5, v[117:118]
	v_fma_f64 v[133:134], v[92:93], 0.5, v[133:134]
	v_fma_f64 v[166:167], v[166:167], s[6:7], v[125:126]
	v_fma_f64 v[145:146], v[137:138], s[8:9], v[145:146]
	v_add_f64 v[98:99], v[164:165], v[115:116]
	v_add_f64 v[103:104], v[141:142], v[127:128]
	v_add_f64 v[111:112], v[164:165], -v[115:116]
	v_add_f64 v[92:93], v[121:122], v[129:130]
	v_add_f64 v[94:95], v[131:132], v[143:144]
	v_add_f64 v[115:116], v[141:142], -v[127:128]
	;; [unrolled: 3-line block ×3, first 2 shown]
	v_mad_legacy_u16 v121, v123, 36, v135
	v_add_f64 v[125:126], v[176:177], v[166:167]
	v_add_f64 v[127:128], v[172:173], v[145:146]
	v_and_b32_e32 v121, 0xff, v121
	v_add_f64 v[137:138], v[139:140], -v[162:163]
	v_add_f64 v[131:132], v[131:132], -v[143:144]
	v_add_lshl_u32 v162, v124, v121, 4
	v_add_f64 v[139:140], v[168:169], -v[133:134]
	ds_write_b128 v162, v[88:91]
	ds_write_b128 v162, v[96:99] offset:96
	ds_write_b128 v162, v[101:104] offset:192
	;; [unrolled: 1-line block ×5, first 2 shown]
	v_mad_u64_u32 v[108:109], s[14:15], v153, 48, s[10:11]
	v_add_f64 v[141:142], v[176:177], -v[166:167]
	v_add_f64 v[143:144], v[172:173], -v[145:146]
	v_mul_u32_u24_e32 v88, 36, v147
	v_add_u32_e32 v88, v88, v178
	v_add_lshl_u32 v163, v124, v88, 4
	ds_write_b128 v163, v[92:95]
	ds_write_b128 v163, v[117:120] offset:96
	ds_write_b128 v163, v[125:128] offset:192
	;; [unrolled: 1-line block ×5, first 2 shown]
	s_waitcnt lgkmcnt(0)
	s_barrier
	global_load_dwordx4 v[88:91], v[108:109], off offset:512
	global_load_dwordx4 v[92:95], v[108:109], off offset:496
	;; [unrolled: 1-line block ×3, first 2 shown]
	v_add_u32_e32 v101, -12, v153
	v_cndmask_b32_e32 v135, v101, v100, vcc
	v_mul_i32_i24_e32 v100, 48, v135
	v_mul_hi_i32_i24_e32 v101, 48, v135
	v_mov_b32_e32 v147, s11
	v_add_co_u32_e32 v100, vcc, s10, v100
	v_addc_co_u32_e32 v101, vcc, v147, v101, vcc
	global_load_dwordx4 v[120:123], v[100:101], off offset:480
	global_load_dwordx4 v[104:107], v[100:101], off offset:496
	s_nop 0
	global_load_dwordx4 v[100:103], v[100:101], off offset:512
	s_nop 0
	global_load_dwordx4 v[116:119], v[108:109], off offset:1056
	global_load_dwordx4 v[112:115], v[108:109], off offset:1072
	s_nop 0
	global_load_dwordx4 v[108:111], v[108:109], off offset:1088
	ds_read_b128 v[125:128], v157
	ds_read_b128 v[129:132], v156 offset:384
	ds_read_b128 v[137:140], v156 offset:2304
	;; [unrolled: 1-line block ×11, first 2 shown]
	s_waitcnt vmcnt(0) lgkmcnt(0)
	s_barrier
	v_cmp_lt_u16_e32 vcc, 11, v153
	v_mul_f64 v[200:201], v[182:183], v[90:91]
	v_mul_f64 v[196:197], v[139:140], v[94:95]
	;; [unrolled: 1-line block ×8, first 2 shown]
	v_fma_f64 v[137:138], v[137:138], v[92:93], -v[196:197]
	v_fma_f64 v[133:134], v[164:165], v[96:97], -v[133:134]
	v_fma_f64 v[145:146], v[166:167], v[96:97], v[145:146]
	v_fma_f64 v[139:140], v[139:140], v[92:93], v[198:199]
	v_fma_f64 v[164:165], v[180:181], v[88:89], -v[200:201]
	v_fma_f64 v[166:167], v[182:183], v[88:89], v[202:203]
	v_mul_f64 v[180:181], v[143:144], v[106:107]
	v_mul_f64 v[182:183], v[141:142], v[106:107]
	;; [unrolled: 1-line block ×4, first 2 shown]
	v_add_f64 v[200:201], v[125:126], -v[137:138]
	v_add_f64 v[202:203], v[127:128], -v[139:140]
	;; [unrolled: 1-line block ×4, first 2 shown]
	v_fma_f64 v[180:181], v[141:142], v[104:105], -v[180:181]
	v_fma_f64 v[182:183], v[143:144], v[104:105], v[182:183]
	v_fma_f64 v[188:189], v[188:189], v[100:101], -v[196:197]
	v_fma_f64 v[190:191], v[190:191], v[100:101], v[198:199]
	v_fma_f64 v[137:138], v[125:126], 2.0, -v[200:201]
	v_fma_f64 v[139:140], v[127:128], 2.0, -v[202:203]
	;; [unrolled: 1-line block ×4, first 2 shown]
	v_mul_f64 v[133:134], v[178:179], v[118:119]
	v_mul_f64 v[141:142], v[176:177], v[118:119]
	;; [unrolled: 1-line block ×6, first 2 shown]
	v_fma_f64 v[172:173], v[172:173], v[120:121], -v[204:205]
	v_fma_f64 v[174:175], v[174:175], v[120:121], v[206:207]
	v_fma_f64 v[133:134], v[176:177], v[116:117], -v[133:134]
	v_fma_f64 v[176:177], v[178:179], v[116:117], v[141:142]
	;; [unrolled: 2-line block ×4, first 2 shown]
	v_add_f64 v[192:193], v[129:130], -v[180:181]
	v_add_f64 v[194:195], v[131:132], -v[182:183]
	;; [unrolled: 1-line block ×8, first 2 shown]
	v_add_f64 v[143:144], v[202:203], v[164:165]
	v_fma_f64 v[186:187], v[129:130], 2.0, -v[192:193]
	v_fma_f64 v[188:189], v[131:132], 2.0, -v[194:195]
	;; [unrolled: 1-line block ×4, first 2 shown]
	v_add_f64 v[125:126], v[137:138], -v[125:126]
	v_add_f64 v[127:128], v[139:140], -v[127:128]
	v_fma_f64 v[190:191], v[168:169], 2.0, -v[196:197]
	v_fma_f64 v[198:199], v[170:171], 2.0, -v[145:146]
	;; [unrolled: 1-line block ×4, first 2 shown]
	v_add_f64 v[141:142], v[200:201], -v[166:167]
	v_add_f64 v[165:166], v[186:187], -v[164:165]
	;; [unrolled: 1-line block ×4, first 2 shown]
	v_add_f64 v[171:172], v[194:195], v[180:181]
	v_fma_f64 v[137:138], v[137:138], 2.0, -v[125:126]
	v_fma_f64 v[139:140], v[139:140], 2.0, -v[127:128]
	v_add_f64 v[173:174], v[190:191], -v[133:134]
	v_add_f64 v[175:176], v[198:199], -v[175:176]
	v_fma_f64 v[129:130], v[200:201], 2.0, -v[141:142]
	v_fma_f64 v[131:132], v[202:203], 2.0, -v[143:144]
	v_add_f64 v[177:178], v[196:197], -v[178:179]
	v_add_f64 v[179:180], v[145:146], v[184:185]
	v_fma_f64 v[181:182], v[186:187], 2.0, -v[165:166]
	v_fma_f64 v[183:184], v[188:189], 2.0, -v[167:168]
	;; [unrolled: 1-line block ×6, first 2 shown]
	ds_write_b128 v157, v[137:140]
	ds_write_b128 v156, v[129:132] offset:576
	ds_write_b128 v156, v[125:128] offset:1152
	;; [unrolled: 1-line block ×3, first 2 shown]
	v_mov_b32_e32 v125, 0x90
	v_fma_f64 v[193:194], v[196:197], 2.0, -v[177:178]
	v_fma_f64 v[195:196], v[145:146], 2.0, -v[179:180]
	v_cndmask_b32_e32 v125, 0, v125, vcc
	v_add_u32_e32 v125, v135, v125
	v_add_lshl_u32 v164, v124, v125, 4
	ds_write_b128 v164, v[181:184]
	ds_write_b128 v164, v[185:188] offset:576
	ds_write_b128 v164, v[165:168] offset:1152
	;; [unrolled: 1-line block ×7, first 2 shown]
	s_waitcnt lgkmcnt(0)
	s_barrier
	global_load_dwordx4 v[124:127], v136, s[10:11] offset:2208
	global_load_dwordx4 v[128:131], v136, s[10:11] offset:2592
	global_load_dwordx4 v[132:135], v136, s[10:11] offset:2976
	global_load_dwordx4 v[140:143], v136, s[10:11] offset:3360
	v_add_co_u32_e32 v144, vcc, s10, v136
	v_addc_co_u32_e32 v145, vcc, 0, v147, vcc
	v_add_co_u32_e32 v144, vcc, s12, v144
	v_addc_co_u32_e32 v145, vcc, 0, v145, vcc
	global_load_dwordx4 v[136:139], v136, s[10:11] offset:3744
	s_movk_i32 s10, 0x1200
	global_load_dwordx4 v[144:147], v[144:145], off offset:32
	ds_read_b128 v[165:168], v157
	ds_read_b128 v[169:172], v156 offset:384
	ds_read_b128 v[173:176], v156 offset:2304
	;; [unrolled: 1-line block ×11, first 2 shown]
	s_waitcnt vmcnt(5) lgkmcnt(9)
	v_mul_f64 v[213:214], v[175:176], v[126:127]
	v_mul_f64 v[215:216], v[173:174], v[126:127]
	s_waitcnt vmcnt(4) lgkmcnt(8)
	v_mul_f64 v[217:218], v[179:180], v[130:131]
	v_mul_f64 v[219:220], v[177:178], v[130:131]
	;; [unrolled: 3-line block ×4, first 2 shown]
	v_fma_f64 v[173:174], v[173:174], v[124:125], -v[213:214]
	v_fma_f64 v[175:176], v[175:176], v[124:125], v[215:216]
	v_fma_f64 v[177:178], v[177:178], v[128:129], -v[217:218]
	v_fma_f64 v[179:180], v[179:180], v[128:129], v[219:220]
	s_waitcnt vmcnt(1) lgkmcnt(1)
	v_mul_f64 v[213:214], v[207:208], v[138:139]
	v_mul_f64 v[215:216], v[205:206], v[138:139]
	s_waitcnt vmcnt(0) lgkmcnt(0)
	v_mul_f64 v[217:218], v[211:212], v[146:147]
	v_mul_f64 v[219:220], v[209:210], v[146:147]
	v_fma_f64 v[189:190], v[189:190], v[132:133], -v[221:222]
	v_fma_f64 v[191:192], v[191:192], v[132:133], v[223:224]
	v_fma_f64 v[193:194], v[193:194], v[140:141], -v[225:226]
	v_fma_f64 v[195:196], v[195:196], v[140:141], v[227:228]
	v_add_f64 v[173:174], v[165:166], -v[173:174]
	v_add_f64 v[175:176], v[167:168], -v[175:176]
	v_fma_f64 v[205:206], v[205:206], v[136:137], -v[213:214]
	v_fma_f64 v[207:208], v[207:208], v[136:137], v[215:216]
	v_fma_f64 v[209:210], v[209:210], v[144:145], -v[217:218]
	v_fma_f64 v[211:212], v[211:212], v[144:145], v[219:220]
	v_add_f64 v[177:178], v[169:170], -v[177:178]
	v_add_f64 v[179:180], v[171:172], -v[179:180]
	;; [unrolled: 1-line block ×6, first 2 shown]
	v_fma_f64 v[165:166], v[165:166], 2.0, -v[173:174]
	v_fma_f64 v[167:168], v[167:168], 2.0, -v[175:176]
	v_add_f64 v[205:206], v[197:198], -v[205:206]
	v_add_f64 v[207:208], v[199:200], -v[207:208]
	;; [unrolled: 1-line block ×4, first 2 shown]
	v_fma_f64 v[169:170], v[169:170], 2.0, -v[177:178]
	v_fma_f64 v[171:172], v[171:172], 2.0, -v[179:180]
	;; [unrolled: 1-line block ×10, first 2 shown]
	ds_write_b128 v157, v[165:168]
	ds_write_b128 v156, v[173:176] offset:2304
	ds_write_b128 v156, v[169:172] offset:384
	ds_write_b128 v156, v[177:180] offset:2688
	ds_write_b128 v156, v[181:184] offset:768
	ds_write_b128 v156, v[189:192] offset:3072
	ds_write_b128 v156, v[185:188] offset:1152
	ds_write_b128 v156, v[193:196] offset:3456
	ds_write_b128 v156, v[197:200] offset:1536
	ds_write_b128 v156, v[205:208] offset:3840
	ds_write_b128 v156, v[201:204] offset:1920
	ds_write_b128 v156, v[209:212] offset:4224
	s_waitcnt lgkmcnt(0)
	s_barrier
	global_load_dwordx4 v[165:168], v[149:150], off offset:512
	v_add_co_u32_e32 v149, vcc, s10, v158
	v_addc_co_u32_e32 v150, vcc, 0, v159, vcc
	global_load_dwordx4 v[169:172], v[149:150], off offset:768
	global_load_dwordx4 v[173:176], v[149:150], off offset:1536
	;; [unrolled: 1-line block ×10, first 2 shown]
	s_movk_i32 s10, 0x2000
	v_add_co_u32_e32 v149, vcc, s10, v158
	v_addc_co_u32_e32 v150, vcc, 0, v159, vcc
	global_load_dwordx4 v[209:212], v[149:150], off offset:640
	ds_read_b128 v[213:216], v157
	s_waitcnt vmcnt(11) lgkmcnt(0)
	v_mul_f64 v[149:150], v[215:216], v[167:168]
	v_mul_f64 v[158:159], v[213:214], v[167:168]
	v_fma_f64 v[213:214], v[213:214], v[165:166], -v[149:150]
	v_fma_f64 v[215:216], v[215:216], v[165:166], v[158:159]
	ds_write_b128 v157, v[213:216]
	ds_read_b128 v[165:168], v156 offset:768
	ds_read_b128 v[213:216], v156 offset:384
	;; [unrolled: 1-line block ×6, first 2 shown]
	s_waitcnt vmcnt(10) lgkmcnt(5)
	v_mul_f64 v[149:150], v[167:168], v[171:172]
	v_mul_f64 v[158:159], v[165:166], v[171:172]
	s_waitcnt vmcnt(9) lgkmcnt(3)
	v_mul_f64 v[171:172], v[219:220], v[175:176]
	v_mul_f64 v[175:176], v[217:218], v[175:176]
	s_waitcnt vmcnt(8) lgkmcnt(2)
	v_mul_f64 v[233:234], v[223:224], v[179:180]
	v_mul_f64 v[179:180], v[221:222], v[179:180]
	v_fma_f64 v[165:166], v[165:166], v[169:170], -v[149:150]
	v_fma_f64 v[167:168], v[167:168], v[169:170], v[158:159]
	v_fma_f64 v[169:170], v[217:218], v[173:174], -v[171:172]
	v_fma_f64 v[171:172], v[219:220], v[173:174], v[175:176]
	;; [unrolled: 2-line block ×3, first 2 shown]
	s_waitcnt vmcnt(5)
	v_mul_f64 v[217:218], v[215:216], v[191:192]
	v_mul_f64 v[191:192], v[213:214], v[191:192]
	s_waitcnt vmcnt(4) lgkmcnt(1)
	v_mul_f64 v[219:220], v[227:228], v[195:196]
	ds_write_b128 v156, v[165:168] offset:768
	ds_read_b128 v[165:168], v156 offset:3072
	ds_write_b128 v156, v[169:172] offset:1536
	ds_write_b128 v156, v[173:176] offset:2304
	ds_read_b128 v[169:172], v156 offset:3840
	ds_read_b128 v[173:176], v156 offset:2688
	;; [unrolled: 1-line block ×3, first 2 shown]
	s_waitcnt lgkmcnt(5)
	v_mul_f64 v[149:150], v[167:168], v[183:184]
	v_mul_f64 v[158:159], v[165:166], v[183:184]
	s_waitcnt lgkmcnt(2)
	v_mul_f64 v[183:184], v[171:172], v[187:188]
	v_mul_f64 v[187:188], v[169:170], v[187:188]
	v_mul_f64 v[195:196], v[225:226], v[195:196]
	v_fma_f64 v[165:166], v[165:166], v[181:182], -v[149:150]
	v_fma_f64 v[167:168], v[167:168], v[181:182], v[158:159]
	v_fma_f64 v[169:170], v[169:170], v[185:186], -v[183:184]
	v_fma_f64 v[181:182], v[213:214], v[189:190], -v[217:218]
	v_fma_f64 v[183:184], v[215:216], v[189:190], v[191:192]
	ds_read_b128 v[189:192], v156 offset:4224
	s_waitcnt vmcnt(3)
	v_mul_f64 v[149:150], v[231:232], v[199:200]
	v_mul_f64 v[158:159], v[229:230], v[199:200]
	s_waitcnt vmcnt(2) lgkmcnt(2)
	v_mul_f64 v[199:200], v[175:176], v[203:204]
	v_mul_f64 v[203:204], v[173:174], v[203:204]
	s_waitcnt vmcnt(1) lgkmcnt(1)
	;; [unrolled: 3-line block ×3, first 2 shown]
	v_mul_f64 v[215:216], v[191:192], v[211:212]
	v_mul_f64 v[211:212], v[189:190], v[211:212]
	v_fma_f64 v[171:172], v[171:172], v[185:186], v[187:188]
	v_fma_f64 v[185:186], v[225:226], v[193:194], -v[219:220]
	v_fma_f64 v[187:188], v[227:228], v[193:194], v[195:196]
	v_fma_f64 v[193:194], v[229:230], v[197:198], -v[149:150]
	;; [unrolled: 2-line block ×5, first 2 shown]
	v_fma_f64 v[191:192], v[191:192], v[209:210], v[211:212]
	ds_write_b128 v156, v[165:168] offset:3072
	ds_write_b128 v156, v[169:172] offset:3840
	;; [unrolled: 1-line block ×8, first 2 shown]
	s_waitcnt lgkmcnt(0)
	s_barrier
	ds_read_b128 v[165:168], v156 offset:3072
	ds_read_b128 v[169:172], v156 offset:1536
	;; [unrolled: 1-line block ×6, first 2 shown]
	s_waitcnt lgkmcnt(4)
	v_add_f64 v[149:150], v[169:170], v[165:166]
	ds_read_b128 v[189:192], v157
	ds_read_b128 v[193:196], v156 offset:2688
	ds_read_b128 v[197:200], v156 offset:4224
	;; [unrolled: 1-line block ×4, first 2 shown]
	s_waitcnt lgkmcnt(5)
	v_add_f64 v[158:159], v[187:188], v[175:176]
	s_waitcnt lgkmcnt(4)
	v_add_f64 v[213:214], v[189:190], v[169:170]
	v_add_f64 v[215:216], v[185:186], v[173:174]
	v_add_f64 v[217:218], v[185:186], -v[173:174]
	v_fma_f64 v[149:150], v[149:150], -0.5, v[189:190]
	v_add_f64 v[189:190], v[171:172], -v[167:168]
	v_add_f64 v[219:220], v[191:192], v[171:172]
	v_add_f64 v[171:172], v[171:172], v[167:168]
	s_waitcnt lgkmcnt(0)
	v_fma_f64 v[158:159], v[158:159], -0.5, v[207:208]
	v_add_f64 v[213:214], v[213:214], v[165:166]
	v_fma_f64 v[215:216], v[215:216], -0.5, v[205:206]
	v_add_f64 v[223:224], v[187:188], -v[175:176]
	v_add_f64 v[165:166], v[169:170], -v[165:166]
	v_fma_f64 v[221:222], v[189:190], s[8:9], v[149:150]
	v_fma_f64 v[225:226], v[189:190], s[6:7], v[149:150]
	v_add_f64 v[169:170], v[205:206], v[185:186]
	v_fma_f64 v[149:150], v[217:218], s[6:7], v[158:159]
	v_fma_f64 v[158:159], v[217:218], s[8:9], v[158:159]
	v_add_f64 v[217:218], v[219:220], v[167:168]
	v_fma_f64 v[167:168], v[171:172], -0.5, v[191:192]
	v_fma_f64 v[171:172], v[223:224], s[8:9], v[215:216]
	v_fma_f64 v[185:186], v[223:224], s[6:7], v[215:216]
	v_add_f64 v[187:188], v[207:208], v[187:188]
	v_add_f64 v[205:206], v[169:170], v[173:174]
	v_mul_f64 v[189:190], v[149:150], s[8:9]
	v_mul_f64 v[191:192], v[158:159], s[8:9]
	v_mul_f64 v[158:159], v[158:159], -0.5
	v_fma_f64 v[207:208], v[165:166], s[6:7], v[167:168]
	v_fma_f64 v[215:216], v[165:166], s[8:9], v[167:168]
	v_add_f64 v[223:224], v[177:178], v[181:182]
	v_add_f64 v[187:188], v[187:188], v[175:176]
	v_add_f64 v[165:166], v[213:214], v[205:206]
	v_fma_f64 v[189:190], v[171:172], 0.5, v[189:190]
	v_fma_f64 v[191:192], v[185:186], -0.5, v[191:192]
	v_fma_f64 v[158:159], v[185:186], s[6:7], v[158:159]
	v_add_f64 v[185:186], v[213:214], -v[205:206]
	v_add_f64 v[213:214], v[195:196], v[199:200]
	ds_read_b128 v[209:212], v156 offset:1152
	v_add_f64 v[167:168], v[217:218], v[187:188]
	v_add_f64 v[187:188], v[217:218], -v[187:188]
	v_add_f64 v[169:170], v[221:222], v[189:190]
	v_add_f64 v[173:174], v[225:226], v[191:192]
	v_add_f64 v[189:190], v[221:222], -v[189:190]
	v_add_f64 v[221:222], v[201:202], v[177:178]
	v_add_f64 v[205:206], v[225:226], -v[191:192]
	v_fma_f64 v[191:192], v[223:224], -0.5, v[201:202]
	v_add_f64 v[201:202], v[179:180], -v[183:184]
	v_add_f64 v[223:224], v[193:194], v[197:198]
	s_waitcnt lgkmcnt(0)
	v_fma_f64 v[213:214], v[213:214], -0.5, v[211:212]
	v_add_f64 v[217:218], v[193:194], -v[197:198]
	v_add_f64 v[225:226], v[203:204], v[179:180]
	v_add_f64 v[179:180], v[179:180], v[183:184]
	v_add_f64 v[229:230], v[195:196], -v[199:200]
	v_mul_f64 v[149:150], v[149:150], 0.5
	v_fma_f64 v[227:228], v[201:202], s[8:9], v[191:192]
	v_fma_f64 v[223:224], v[223:224], -0.5, v[209:210]
	v_fma_f64 v[231:232], v[201:202], s[6:7], v[191:192]
	v_fma_f64 v[191:192], v[217:218], s[6:7], v[213:214]
	v_fma_f64 v[201:202], v[217:218], s[8:9], v[213:214]
	v_add_f64 v[221:222], v[221:222], v[181:182]
	v_add_f64 v[177:178], v[177:178], -v[181:182]
	v_add_f64 v[181:182], v[209:210], v[193:194]
	v_add_f64 v[195:196], v[211:212], v[195:196]
	;; [unrolled: 1-line block ×3, first 2 shown]
	v_fma_f64 v[179:180], v[179:180], -0.5, v[203:204]
	v_fma_f64 v[183:184], v[229:230], s[8:9], v[223:224]
	v_mul_f64 v[203:204], v[191:192], s[8:9]
	v_mul_f64 v[191:192], v[191:192], 0.5
	v_fma_f64 v[193:194], v[229:230], s[6:7], v[223:224]
	v_mul_f64 v[209:210], v[201:202], s[8:9]
	v_mul_f64 v[201:202], v[201:202], -0.5
	v_fma_f64 v[219:220], v[171:172], s[6:7], v[149:150]
	v_add_f64 v[197:198], v[181:182], v[197:198]
	v_add_f64 v[199:200], v[195:196], v[199:200]
	v_fma_f64 v[211:212], v[177:178], s[6:7], v[179:180]
	v_fma_f64 v[203:204], v[183:184], 0.5, v[203:204]
	v_fma_f64 v[223:224], v[183:184], s[6:7], v[191:192]
	v_fma_f64 v[217:218], v[177:178], s[8:9], v[179:180]
	v_fma_f64 v[209:210], v[193:194], -0.5, v[209:210]
	v_fma_f64 v[225:226], v[193:194], s[6:7], v[201:202]
	v_add_f64 v[171:172], v[207:208], v[219:220]
	v_add_f64 v[175:176], v[215:216], v[158:159]
	v_add_f64 v[191:192], v[207:208], -v[219:220]
	v_add_f64 v[207:208], v[215:216], -v[158:159]
	v_add_f64 v[177:178], v[221:222], v[197:198]
	v_add_f64 v[179:180], v[213:214], v[199:200]
	;; [unrolled: 1-line block ×6, first 2 shown]
	v_add_f64 v[197:198], v[221:222], -v[197:198]
	v_add_f64 v[201:202], v[227:228], -v[203:204]
	;; [unrolled: 1-line block ×6, first 2 shown]
	s_barrier
	ds_write_b128 v160, v[165:168]
	ds_write_b128 v160, v[169:172] offset:16
	ds_write_b128 v160, v[173:176] offset:32
	;; [unrolled: 1-line block ×5, first 2 shown]
	ds_write_b128 v161, v[177:180]
	ds_write_b128 v161, v[181:184] offset:16
	ds_write_b128 v161, v[193:196] offset:32
	;; [unrolled: 1-line block ×5, first 2 shown]
	s_waitcnt lgkmcnt(0)
	s_barrier
	ds_read_b128 v[158:161], v157
	ds_read_b128 v[165:168], v156 offset:384
	ds_read_b128 v[169:172], v156 offset:768
	;; [unrolled: 1-line block ×7, first 2 shown]
	s_waitcnt lgkmcnt(5)
	v_mul_f64 v[209:210], v[66:67], v[171:172]
	v_mul_f64 v[66:67], v[66:67], v[169:170]
	s_waitcnt lgkmcnt(3)
	v_mul_f64 v[211:212], v[62:63], v[179:180]
	v_mul_f64 v[62:63], v[62:63], v[177:178]
	s_waitcnt lgkmcnt(1)
	v_mul_f64 v[213:214], v[54:55], v[187:188]
	v_mul_f64 v[54:55], v[54:55], v[185:186]
	ds_read_b128 v[193:196], v156 offset:3072
	ds_read_b128 v[197:200], v156 offset:3456
	;; [unrolled: 1-line block ×4, first 2 shown]
	v_fma_f64 v[169:170], v[64:65], v[169:170], v[209:210]
	v_fma_f64 v[64:65], v[64:65], v[171:172], -v[66:67]
	v_fma_f64 v[66:67], v[60:61], v[177:178], v[211:212]
	s_waitcnt lgkmcnt(3)
	v_mul_f64 v[171:172], v[50:51], v[195:196]
	v_mul_f64 v[50:51], v[50:51], v[193:194]
	v_fma_f64 v[60:61], v[60:61], v[179:180], -v[62:63]
	v_fma_f64 v[62:63], v[52:53], v[185:186], v[213:214]
	s_waitcnt lgkmcnt(1)
	v_mul_f64 v[177:178], v[78:79], v[203:204]
	v_mul_f64 v[78:79], v[78:79], v[201:202]
	v_fma_f64 v[52:53], v[52:53], v[187:188], -v[54:55]
	v_mul_f64 v[54:55], v[86:87], v[175:176]
	v_fma_f64 v[171:172], v[48:49], v[193:194], v[171:172]
	v_fma_f64 v[48:49], v[48:49], v[195:196], -v[50:51]
	v_mul_f64 v[50:51], v[86:87], v[173:174]
	v_mul_f64 v[86:87], v[82:83], v[183:184]
	v_fma_f64 v[177:178], v[76:77], v[201:202], v[177:178]
	v_fma_f64 v[76:77], v[76:77], v[203:204], -v[78:79]
	v_mul_f64 v[78:79], v[82:83], v[181:182]
	v_fma_f64 v[82:83], v[84:85], v[173:174], v[54:55]
	v_mul_f64 v[54:55], v[74:75], v[191:192]
	v_mul_f64 v[74:75], v[74:75], v[189:190]
	v_fma_f64 v[84:85], v[84:85], v[175:176], -v[50:51]
	v_fma_f64 v[86:87], v[80:81], v[181:182], v[86:87]
	v_mul_f64 v[50:51], v[70:71], v[199:200]
	v_mul_f64 v[70:71], v[70:71], v[197:198]
	v_fma_f64 v[78:79], v[80:81], v[183:184], -v[78:79]
	v_add_f64 v[80:81], v[66:67], v[171:172]
	v_fma_f64 v[173:174], v[72:73], v[189:190], v[54:55]
	v_fma_f64 v[72:73], v[72:73], v[191:192], -v[74:75]
	s_waitcnt lgkmcnt(0)
	v_mul_f64 v[54:55], v[58:59], v[207:208]
	v_add_f64 v[74:75], v[52:53], v[76:77]
	v_fma_f64 v[175:176], v[68:69], v[197:198], v[50:51]
	v_fma_f64 v[70:71], v[68:69], v[199:200], -v[70:71]
	v_add_f64 v[50:51], v[158:159], v[66:67]
	v_fma_f64 v[68:69], v[80:81], -0.5, v[158:159]
	v_add_f64 v[80:81], v[60:61], -v[48:49]
	v_add_f64 v[158:159], v[62:63], v[177:178]
	v_fma_f64 v[179:180], v[56:57], v[205:206], v[54:55]
	v_fma_f64 v[54:55], v[74:75], -0.5, v[64:65]
	v_add_f64 v[74:75], v[62:63], -v[177:178]
	v_add_f64 v[185:186], v[52:53], -v[76:77]
	v_add_f64 v[181:182], v[50:51], v[171:172]
	v_add_f64 v[50:51], v[60:61], v[48:49]
	v_fma_f64 v[183:184], v[80:81], s[8:9], v[68:69]
	v_fma_f64 v[158:159], v[158:159], -0.5, v[169:170]
	v_fma_f64 v[68:69], v[80:81], s[6:7], v[68:69]
	v_add_f64 v[60:61], v[160:161], v[60:61]
	v_fma_f64 v[80:81], v[74:75], s[6:7], v[54:55]
	v_fma_f64 v[54:55], v[74:75], s[8:9], v[54:55]
	v_mul_f64 v[58:59], v[58:59], v[205:206]
	v_fma_f64 v[50:51], v[50:51], -0.5, v[160:161]
	v_add_f64 v[66:67], v[66:67], -v[171:172]
	v_add_f64 v[62:63], v[169:170], v[62:63]
	v_fma_f64 v[74:75], v[185:186], s[8:9], v[158:159]
	v_fma_f64 v[158:159], v[185:186], s[6:7], v[158:159]
	v_mul_f64 v[160:161], v[80:81], s[8:9]
	v_mul_f64 v[169:170], v[54:55], s[8:9]
	v_add_f64 v[171:172], v[60:61], v[48:49]
	v_mul_f64 v[48:49], v[80:81], 0.5
	v_mul_f64 v[54:55], v[54:55], -0.5
	v_add_f64 v[52:53], v[64:65], v[52:53]
	v_fma_f64 v[80:81], v[66:67], s[6:7], v[50:51]
	v_add_f64 v[60:61], v[62:63], v[177:178]
	v_fma_f64 v[62:63], v[74:75], 0.5, v[160:161]
	v_fma_f64 v[160:161], v[158:159], -0.5, v[169:170]
	v_fma_f64 v[169:170], v[66:67], s[8:9], v[50:51]
	v_fma_f64 v[66:67], v[74:75], s[6:7], v[48:49]
	;; [unrolled: 1-line block ×3, first 2 shown]
	v_fma_f64 v[158:159], v[56:57], v[207:208], -v[58:59]
	v_add_f64 v[76:77], v[52:53], v[76:77]
	v_add_f64 v[48:49], v[181:182], v[60:61]
	;; [unrolled: 1-line block ×3, first 2 shown]
	v_add_f64 v[60:61], v[181:182], -v[60:61]
	v_add_f64 v[52:53], v[183:184], v[62:63]
	v_add_f64 v[56:57], v[68:69], v[160:161]
	v_add_f64 v[64:65], v[183:184], -v[62:63]
	v_add_f64 v[181:182], v[72:73], v[158:159]
	v_add_f64 v[50:51], v[171:172], v[76:77]
	v_add_f64 v[183:184], v[165:166], v[86:87]
	v_add_f64 v[68:69], v[68:69], -v[160:161]
	v_fma_f64 v[160:161], v[177:178], -0.5, v[165:166]
	v_add_f64 v[165:166], v[78:79], -v[70:71]
	v_add_f64 v[177:178], v[173:174], v[179:180]
	v_add_f64 v[62:63], v[171:172], -v[76:77]
	v_fma_f64 v[76:77], v[181:182], -0.5, v[84:85]
	v_add_f64 v[171:172], v[173:174], -v[179:180]
	v_add_f64 v[181:182], v[183:184], v[175:176]
	v_add_f64 v[183:184], v[167:168], v[78:79]
	v_add_f64 v[78:79], v[78:79], v[70:71]
	v_fma_f64 v[185:186], v[165:166], s[8:9], v[160:161]
	v_fma_f64 v[177:178], v[177:178], -0.5, v[82:83]
	v_add_f64 v[187:188], v[72:73], -v[158:159]
	v_fma_f64 v[160:161], v[165:166], s[6:7], v[160:161]
	v_fma_f64 v[165:166], v[171:172], s[6:7], v[76:77]
	;; [unrolled: 1-line block ×3, first 2 shown]
	v_add_f64 v[82:83], v[82:83], v[173:174]
	v_add_f64 v[72:73], v[84:85], v[72:73]
	;; [unrolled: 1-line block ×3, first 2 shown]
	v_fma_f64 v[70:71], v[78:79], -0.5, v[167:168]
	v_add_f64 v[78:79], v[86:87], -v[175:176]
	v_fma_f64 v[86:87], v[187:188], s[8:9], v[177:178]
	v_fma_f64 v[167:168], v[187:188], s[6:7], v[177:178]
	v_mul_f64 v[173:174], v[165:166], s[8:9]
	v_mul_f64 v[175:176], v[76:77], s[8:9]
	v_mul_f64 v[84:85], v[165:166], 0.5
	v_mul_f64 v[76:77], v[76:77], -0.5
	v_add_f64 v[165:166], v[82:83], v[179:180]
	v_add_f64 v[179:180], v[72:73], v[158:159]
	v_fma_f64 v[177:178], v[78:79], s[6:7], v[70:71]
	v_fma_f64 v[183:184], v[78:79], s[8:9], v[70:71]
	v_fma_f64 v[173:174], v[86:87], 0.5, v[173:174]
	v_fma_f64 v[175:176], v[167:168], -0.5, v[175:176]
	v_fma_f64 v[187:188], v[86:87], s[6:7], v[84:85]
	v_fma_f64 v[167:168], v[167:168], s[6:7], v[76:77]
	v_add_f64 v[54:55], v[80:81], v[66:67]
	v_add_f64 v[58:59], v[169:170], v[74:75]
	v_add_f64 v[66:67], v[80:81], -v[66:67]
	v_add_f64 v[70:71], v[169:170], -v[74:75]
	v_add_f64 v[72:73], v[181:182], v[165:166]
	v_add_f64 v[74:75], v[171:172], v[179:180]
	;; [unrolled: 1-line block ×6, first 2 shown]
	v_add_f64 v[84:85], v[181:182], -v[165:166]
	v_add_f64 v[158:159], v[185:186], -v[173:174]
	;; [unrolled: 1-line block ×6, first 2 shown]
	s_barrier
	ds_write_b128 v162, v[48:51]
	ds_write_b128 v162, v[52:55] offset:96
	ds_write_b128 v162, v[56:59] offset:192
	;; [unrolled: 1-line block ×5, first 2 shown]
	ds_write_b128 v163, v[72:75]
	ds_write_b128 v163, v[76:79] offset:96
	ds_write_b128 v163, v[80:83] offset:192
	;; [unrolled: 1-line block ×5, first 2 shown]
	s_waitcnt lgkmcnt(0)
	s_barrier
	ds_read_b128 v[48:51], v157
	ds_read_b128 v[52:55], v156 offset:384
	ds_read_b128 v[56:59], v156 offset:2304
	;; [unrolled: 1-line block ×11, first 2 shown]
	s_waitcnt lgkmcnt(7)
	v_mul_f64 v[162:163], v[98:99], v[66:67]
	v_mul_f64 v[98:99], v[98:99], v[64:65]
	;; [unrolled: 1-line block ×4, first 2 shown]
	s_waitcnt lgkmcnt(3)
	v_mul_f64 v[171:172], v[90:91], v[82:83]
	v_mul_f64 v[90:91], v[90:91], v[80:81]
	;; [unrolled: 1-line block ×4, first 2 shown]
	v_fma_f64 v[64:65], v[96:97], v[64:65], v[162:163]
	v_fma_f64 v[66:67], v[96:97], v[66:67], -v[98:99]
	v_fma_f64 v[56:57], v[92:93], v[56:57], v[169:170]
	v_fma_f64 v[58:59], v[92:93], v[58:59], -v[94:95]
	;; [unrolled: 2-line block ×3, first 2 shown]
	v_mul_f64 v[88:89], v[106:107], v[62:63]
	v_mul_f64 v[90:91], v[106:107], v[60:61]
	s_waitcnt lgkmcnt(1)
	v_mul_f64 v[92:93], v[102:103], v[160:161]
	v_mul_f64 v[94:95], v[102:103], v[158:159]
	v_add_f64 v[96:97], v[48:49], -v[56:57]
	v_add_f64 v[98:99], v[50:51], -v[58:59]
	;; [unrolled: 1-line block ×4, first 2 shown]
	v_fma_f64 v[88:89], v[104:105], v[60:61], v[88:89]
	v_fma_f64 v[90:91], v[104:105], v[62:63], -v[90:91]
	v_fma_f64 v[92:93], v[100:101], v[158:159], v[92:93]
	v_fma_f64 v[94:95], v[100:101], v[160:161], -v[94:95]
	v_fma_f64 v[56:57], v[48:49], 2.0, -v[96:97]
	v_fma_f64 v[58:59], v[50:51], 2.0, -v[98:99]
	;; [unrolled: 1-line block ×4, first 2 shown]
	v_mul_f64 v[60:61], v[118:119], v[78:79]
	v_mul_f64 v[62:63], v[118:119], v[76:77]
	;; [unrolled: 1-line block ×4, first 2 shown]
	s_waitcnt lgkmcnt(0)
	v_mul_f64 v[100:101], v[110:111], v[167:168]
	v_mul_f64 v[102:103], v[110:111], v[165:166]
	v_fma_f64 v[72:73], v[120:121], v[72:73], v[173:174]
	v_fma_f64 v[74:75], v[120:121], v[74:75], -v[122:123]
	v_fma_f64 v[76:77], v[116:117], v[76:77], v[60:61]
	v_fma_f64 v[78:79], v[116:117], v[78:79], -v[62:63]
	;; [unrolled: 2-line block ×4, first 2 shown]
	v_add_f64 v[60:61], v[96:97], v[82:83]
	v_add_f64 v[62:63], v[98:99], -v[80:81]
	v_add_f64 v[88:89], v[52:53], -v[88:89]
	;; [unrolled: 1-line block ×9, first 2 shown]
	v_fma_f64 v[100:101], v[52:53], 2.0, -v[88:89]
	v_fma_f64 v[102:103], v[54:55], 2.0, -v[90:91]
	v_fma_f64 v[64:65], v[72:73], 2.0, -v[80:81]
	v_fma_f64 v[66:67], v[74:75], 2.0, -v[82:83]
	v_fma_f64 v[104:105], v[68:69], 2.0, -v[92:93]
	v_fma_f64 v[106:107], v[70:71], 2.0, -v[94:95]
	v_fma_f64 v[72:73], v[76:77], 2.0, -v[84:85]
	v_fma_f64 v[74:75], v[78:79], 2.0, -v[86:87]
	v_add_f64 v[48:49], v[56:57], -v[48:49]
	v_add_f64 v[50:51], v[58:59], -v[50:51]
	;; [unrolled: 1-line block ×4, first 2 shown]
	v_add_f64 v[68:69], v[88:89], v[82:83]
	v_add_f64 v[70:71], v[90:91], -v[80:81]
	v_add_f64 v[72:73], v[104:105], -v[72:73]
	;; [unrolled: 1-line block ×3, first 2 shown]
	v_add_f64 v[76:77], v[92:93], v[86:87]
	v_add_f64 v[78:79], v[94:95], -v[84:85]
	v_fma_f64 v[56:57], v[56:57], 2.0, -v[48:49]
	v_fma_f64 v[58:59], v[58:59], 2.0, -v[50:51]
	;; [unrolled: 1-line block ×12, first 2 shown]
	s_barrier
	ds_write_b128 v157, v[56:59]
	ds_write_b128 v156, v[52:55] offset:576
	ds_write_b128 v156, v[48:51] offset:1152
	;; [unrolled: 1-line block ×3, first 2 shown]
	ds_write_b128 v164, v[80:83]
	ds_write_b128 v164, v[84:87] offset:576
	ds_write_b128 v164, v[64:67] offset:1152
	;; [unrolled: 1-line block ×7, first 2 shown]
	s_waitcnt lgkmcnt(0)
	s_barrier
	ds_read_b128 v[48:51], v157
	ds_read_b128 v[52:55], v156 offset:384
	ds_read_b128 v[56:59], v156 offset:2304
	ds_read_b128 v[60:63], v156 offset:2688
	ds_read_b128 v[64:67], v156 offset:768
	ds_read_b128 v[68:71], v156 offset:1152
	ds_read_b128 v[72:75], v156 offset:3072
	ds_read_b128 v[76:79], v156 offset:3456
	ds_read_b128 v[80:83], v156 offset:1536
	ds_read_b128 v[84:87], v156 offset:1920
	ds_read_b128 v[88:91], v156 offset:3840
	ds_read_b128 v[92:95], v156 offset:4224
	s_waitcnt lgkmcnt(9)
	v_mul_f64 v[96:97], v[126:127], v[58:59]
	v_mul_f64 v[98:99], v[126:127], v[56:57]
	s_waitcnt lgkmcnt(8)
	v_mul_f64 v[100:101], v[130:131], v[62:63]
	v_mul_f64 v[102:103], v[130:131], v[60:61]
	;; [unrolled: 3-line block ×4, first 2 shown]
	v_fma_f64 v[56:57], v[124:125], v[56:57], v[96:97]
	v_fma_f64 v[58:59], v[124:125], v[58:59], -v[98:99]
	v_fma_f64 v[60:61], v[128:129], v[60:61], v[100:101]
	v_fma_f64 v[62:63], v[128:129], v[62:63], -v[102:103]
	s_waitcnt lgkmcnt(1)
	v_mul_f64 v[96:97], v[138:139], v[90:91]
	v_mul_f64 v[98:99], v[138:139], v[88:89]
	s_waitcnt lgkmcnt(0)
	v_mul_f64 v[100:101], v[146:147], v[94:95]
	v_mul_f64 v[102:103], v[146:147], v[92:93]
	v_fma_f64 v[72:73], v[132:133], v[72:73], v[104:105]
	v_fma_f64 v[74:75], v[132:133], v[74:75], -v[106:107]
	v_fma_f64 v[76:77], v[140:141], v[76:77], v[108:109]
	v_fma_f64 v[78:79], v[140:141], v[78:79], -v[110:111]
	v_add_f64 v[56:57], v[48:49], -v[56:57]
	v_add_f64 v[58:59], v[50:51], -v[58:59]
	v_fma_f64 v[88:89], v[136:137], v[88:89], v[96:97]
	v_fma_f64 v[90:91], v[136:137], v[90:91], -v[98:99]
	v_fma_f64 v[92:93], v[144:145], v[92:93], v[100:101]
	v_fma_f64 v[94:95], v[144:145], v[94:95], -v[102:103]
	v_add_f64 v[60:61], v[52:53], -v[60:61]
	v_add_f64 v[62:63], v[54:55], -v[62:63]
	;; [unrolled: 1-line block ×6, first 2 shown]
	v_fma_f64 v[48:49], v[48:49], 2.0, -v[56:57]
	v_fma_f64 v[50:51], v[50:51], 2.0, -v[58:59]
	v_add_f64 v[88:89], v[80:81], -v[88:89]
	v_add_f64 v[90:91], v[82:83], -v[90:91]
	;; [unrolled: 1-line block ×4, first 2 shown]
	v_fma_f64 v[52:53], v[52:53], 2.0, -v[60:61]
	v_fma_f64 v[54:55], v[54:55], 2.0, -v[62:63]
	;; [unrolled: 1-line block ×10, first 2 shown]
	ds_write_b128 v157, v[48:51]
	ds_write_b128 v156, v[56:59] offset:2304
	ds_write_b128 v156, v[52:55] offset:384
	;; [unrolled: 1-line block ×11, first 2 shown]
	s_waitcnt lgkmcnt(0)
	s_barrier
	ds_read_b128 v[48:51], v157
	v_mad_u64_u32 v[149:150], s[10:11], s2, v148, 0
	ds_read_b128 v[52:55], v156 offset:384
	v_mov_b32_e32 v66, s5
	s_waitcnt lgkmcnt(1)
	v_mul_f64 v[57:58], v[2:3], v[50:51]
	v_mul_f64 v[2:3], v[2:3], v[48:49]
	v_mov_b32_e32 v56, v150
	s_mul_hi_u32 s5, s0, 0x300
	v_mad_u64_u32 v[68:69], s[6:7], s0, v152, 0
	s_mul_i32 s8, s1, 0x600
	v_mad_u64_u32 v[59:60], s[2:3], s3, v148, v[56:57]
	v_mad_u64_u32 v[60:61], s[2:3], s0, v153, 0
	v_fma_f64 v[48:49], v[0:1], v[48:49], v[57:58]
	v_fma_f64 v[50:51], v[0:1], v[50:51], -v[2:3]
	v_mov_b32_e32 v0, v61
	v_mad_u64_u32 v[56:57], s[6:7], s1, v153, v[0:1]
	ds_read_b128 v[0:3], v156 offset:768
	v_mov_b32_e32 v150, v59
	v_lshlrev_b64 v[64:65], 4, v[149:150]
	v_mov_b32_e32 v61, v56
	v_add_co_u32_e32 v72, vcc, s4, v64
	s_waitcnt lgkmcnt(0)
	v_mul_f64 v[62:63], v[10:11], v[2:3]
	v_mul_f64 v[10:11], v[10:11], v[0:1]
	v_addc_co_u32_e32 v73, vcc, v66, v65, vcc
	ds_read_b128 v[56:59], v156 offset:1152
	s_mov_b32 s2, 0x1c71c71c
	s_mov_b32 s3, 0x3f6c71c7
	v_mul_f64 v[48:49], v[48:49], s[2:3]
	v_fma_f64 v[0:1], v[8:9], v[0:1], v[62:63]
	v_fma_f64 v[2:3], v[8:9], v[2:3], -v[10:11]
	v_lshlrev_b64 v[8:9], 4, v[60:61]
	v_mul_f64 v[50:51], v[50:51], s[2:3]
	v_add_co_u32_e32 v60, vcc, v72, v8
	v_addc_co_u32_e32 v61, vcc, v73, v9, vcc
	ds_read_b128 v[8:11], v156 offset:1536
	s_mul_i32 s4, s1, 0x300
	s_add_i32 s4, s5, s4
	s_mul_i32 s5, s0, 0x300
	v_mov_b32_e32 v62, s4
	s_waitcnt lgkmcnt(0)
	v_mul_f64 v[64:65], v[6:7], v[10:11]
	v_mul_f64 v[6:7], v[6:7], v[8:9]
	v_add_co_u32_e32 v66, vcc, s5, v60
	global_store_dwordx4 v[60:61], v[48:51], off
	v_mul_f64 v[0:1], v[0:1], s[2:3]
	v_mul_f64 v[2:3], v[2:3], s[2:3]
	ds_read_b128 v[48:51], v156 offset:1920
	v_addc_co_u32_e32 v67, vcc, v61, v62, vcc
	ds_read_b128 v[60:63], v156 offset:2304
	v_fma_f64 v[8:9], v[4:5], v[8:9], v[64:65]
	v_fma_f64 v[10:11], v[4:5], v[10:11], -v[6:7]
	v_mov_b32_e32 v64, v69
	v_mad_u64_u32 v[64:65], s[6:7], s1, v152, v[64:65]
	s_waitcnt lgkmcnt(0)
	v_mul_f64 v[70:71], v[14:15], v[62:63]
	global_store_dwordx4 v[66:67], v[0:3], off
	v_mov_b32_e32 v69, v64
	v_mul_f64 v[0:1], v[8:9], s[2:3]
	v_mul_f64 v[2:3], v[10:11], s[2:3]
	v_lshlrev_b64 v[10:11], 4, v[68:69]
	v_mul_f64 v[8:9], v[14:15], v[60:61]
	v_add_co_u32_e32 v10, vcc, v72, v10
	v_fma_f64 v[14:15], v[12:13], v[60:61], v[70:71]
	v_addc_co_u32_e32 v11, vcc, v73, v11, vcc
	ds_read_b128 v[4:7], v156 offset:2688
	global_store_dwordx4 v[10:11], v[0:3], off
	ds_read_b128 v[0:3], v156 offset:3072
	v_fma_f64 v[10:11], v[12:13], v[62:63], -v[8:9]
	v_mad_u64_u32 v[64:65], s[6:7], s0, v151, v[66:67]
	v_mul_f64 v[8:9], v[14:15], s[2:3]
	ds_read_b128 v[12:15], v156 offset:3456
	ds_read_b128 v[60:63], v156 offset:3840
	s_waitcnt lgkmcnt(2)
	v_mul_f64 v[66:67], v[18:19], v[2:3]
	v_mul_f64 v[18:19], v[18:19], v[0:1]
	v_mad_u64_u32 v[68:69], s[6:7], s0, v154, 0
	s_waitcnt lgkmcnt(0)
	v_mul_f64 v[70:71], v[22:23], v[62:63]
	v_mul_f64 v[22:23], v[22:23], v[60:61]
	;; [unrolled: 1-line block ×3, first 2 shown]
	v_add_u32_e32 v65, s8, v65
	v_fma_f64 v[66:67], v[16:17], v[0:1], v[66:67]
	v_fma_f64 v[16:17], v[16:17], v[2:3], -v[18:19]
	v_mov_b32_e32 v18, v69
	v_mad_u64_u32 v[18:19], s[6:7], s1, v154, v[18:19]
	s_mulk_i32 s1, 0xf280
	global_store_dwordx4 v[64:65], v[8:11], off
	v_mov_b32_e32 v69, v18
	v_fma_f64 v[18:19], v[20:21], v[60:61], v[70:71]
	v_fma_f64 v[20:21], v[20:21], v[62:63], -v[22:23]
	v_mul_f64 v[22:23], v[26:27], v[54:55]
	v_mul_f64 v[26:27], v[26:27], v[52:53]
	;; [unrolled: 1-line block ×3, first 2 shown]
	v_lshlrev_b64 v[16:17], 4, v[68:69]
	v_mul_f64 v[8:9], v[66:67], s[2:3]
	v_add_co_u32_e32 v60, vcc, v72, v16
	v_addc_co_u32_e32 v61, vcc, v73, v17, vcc
	v_mul_f64 v[16:17], v[18:19], s[2:3]
	v_mul_f64 v[18:19], v[20:21], s[2:3]
	v_fma_f64 v[20:21], v[24:25], v[52:53], v[22:23]
	v_fma_f64 v[22:23], v[24:25], v[54:55], -v[26:27]
	v_mul_f64 v[26:27], v[30:31], v[58:59]
	v_mul_f64 v[30:31], v[30:31], v[56:57]
	v_mad_u64_u32 v[24:25], s[6:7], s0, v151, v[64:65]
	global_store_dwordx4 v[60:61], v[8:11], off
	ds_read_b128 v[0:3], v156 offset:4224
	v_add_u32_e32 v25, s8, v25
	global_store_dwordx4 v[24:25], v[16:19], off
	v_mul_f64 v[8:9], v[20:21], s[2:3]
	v_mul_f64 v[10:11], v[22:23], s[2:3]
	v_fma_f64 v[18:19], v[28:29], v[56:57], v[26:27]
	v_fma_f64 v[20:21], v[28:29], v[58:59], -v[30:31]
	v_mul_f64 v[22:23], v[34:35], v[50:51]
	v_mad_u64_u32 v[16:17], s[6:7], s0, v155, v[24:25]
	v_mul_f64 v[24:25], v[34:35], v[48:49]
	s_sub_i32 s0, s1, s0
	v_add_u32_e32 v17, s0, v17
	global_store_dwordx4 v[16:17], v[8:11], off
	v_mov_b32_e32 v26, s4
	v_mul_f64 v[8:9], v[18:19], s[2:3]
	v_mul_f64 v[10:11], v[20:21], s[2:3]
	v_fma_f64 v[18:19], v[32:33], v[48:49], v[22:23]
	v_fma_f64 v[20:21], v[32:33], v[50:51], -v[24:25]
	v_mul_f64 v[22:23], v[38:39], v[6:7]
	v_mul_f64 v[24:25], v[38:39], v[4:5]
	v_add_co_u32_e32 v16, vcc, s5, v16
	v_addc_co_u32_e32 v17, vcc, v17, v26, vcc
	global_store_dwordx4 v[16:17], v[8:11], off
	v_add_co_u32_e32 v16, vcc, s5, v16
	v_mul_f64 v[8:9], v[18:19], s[2:3]
	v_mov_b32_e32 v18, s4
	v_mul_f64 v[10:11], v[20:21], s[2:3]
	v_addc_co_u32_e32 v17, vcc, v17, v18, vcc
	v_mul_f64 v[18:19], v[42:43], v[14:15]
	v_mul_f64 v[20:21], v[42:43], v[12:13]
	v_fma_f64 v[4:5], v[36:37], v[4:5], v[22:23]
	v_fma_f64 v[6:7], v[36:37], v[6:7], -v[24:25]
	s_waitcnt lgkmcnt(0)
	v_mul_f64 v[22:23], v[46:47], v[2:3]
	v_mul_f64 v[24:25], v[46:47], v[0:1]
	global_store_dwordx4 v[16:17], v[8:11], off
	v_add_co_u32_e32 v16, vcc, s5, v16
	v_fma_f64 v[8:9], v[40:41], v[12:13], v[18:19]
	v_fma_f64 v[10:11], v[40:41], v[14:15], -v[20:21]
	v_mul_f64 v[4:5], v[4:5], s[2:3]
	v_mul_f64 v[6:7], v[6:7], s[2:3]
	v_fma_f64 v[12:13], v[44:45], v[0:1], v[22:23]
	v_fma_f64 v[14:15], v[44:45], v[2:3], -v[24:25]
	v_addc_co_u32_e32 v17, vcc, v17, v26, vcc
	v_mul_f64 v[0:1], v[8:9], s[2:3]
	v_mul_f64 v[2:3], v[10:11], s[2:3]
	v_mov_b32_e32 v9, s4
	global_store_dwordx4 v[16:17], v[4:7], off
	v_add_co_u32_e32 v8, vcc, s5, v16
	v_mul_f64 v[4:5], v[12:13], s[2:3]
	v_mul_f64 v[6:7], v[14:15], s[2:3]
	v_addc_co_u32_e32 v9, vcc, v17, v9, vcc
	global_store_dwordx4 v[8:9], v[0:3], off
	s_nop 0
	v_mov_b32_e32 v1, s4
	v_add_co_u32_e32 v0, vcc, s5, v8
	v_addc_co_u32_e32 v1, vcc, v9, v1, vcc
	global_store_dwordx4 v[0:1], v[4:7], off
.LBB0_2:
	s_endpgm
	.section	.rodata,"a",@progbits
	.p2align	6, 0x0
	.amdhsa_kernel bluestein_single_back_len288_dim1_dp_op_CI_CI
		.amdhsa_group_segment_fixed_size 23040
		.amdhsa_private_segment_fixed_size 0
		.amdhsa_kernarg_size 104
		.amdhsa_user_sgpr_count 6
		.amdhsa_user_sgpr_private_segment_buffer 1
		.amdhsa_user_sgpr_dispatch_ptr 0
		.amdhsa_user_sgpr_queue_ptr 0
		.amdhsa_user_sgpr_kernarg_segment_ptr 1
		.amdhsa_user_sgpr_dispatch_id 0
		.amdhsa_user_sgpr_flat_scratch_init 0
		.amdhsa_user_sgpr_private_segment_size 0
		.amdhsa_uses_dynamic_stack 0
		.amdhsa_system_sgpr_private_segment_wavefront_offset 0
		.amdhsa_system_sgpr_workgroup_id_x 1
		.amdhsa_system_sgpr_workgroup_id_y 0
		.amdhsa_system_sgpr_workgroup_id_z 0
		.amdhsa_system_sgpr_workgroup_info 0
		.amdhsa_system_vgpr_workitem_id 0
		.amdhsa_next_free_vgpr 235
		.amdhsa_next_free_sgpr 20
		.amdhsa_reserve_vcc 1
		.amdhsa_reserve_flat_scratch 0
		.amdhsa_float_round_mode_32 0
		.amdhsa_float_round_mode_16_64 0
		.amdhsa_float_denorm_mode_32 3
		.amdhsa_float_denorm_mode_16_64 3
		.amdhsa_dx10_clamp 1
		.amdhsa_ieee_mode 1
		.amdhsa_fp16_overflow 0
		.amdhsa_exception_fp_ieee_invalid_op 0
		.amdhsa_exception_fp_denorm_src 0
		.amdhsa_exception_fp_ieee_div_zero 0
		.amdhsa_exception_fp_ieee_overflow 0
		.amdhsa_exception_fp_ieee_underflow 0
		.amdhsa_exception_fp_ieee_inexact 0
		.amdhsa_exception_int_div_zero 0
	.end_amdhsa_kernel
	.text
.Lfunc_end0:
	.size	bluestein_single_back_len288_dim1_dp_op_CI_CI, .Lfunc_end0-bluestein_single_back_len288_dim1_dp_op_CI_CI
                                        ; -- End function
	.section	.AMDGPU.csdata,"",@progbits
; Kernel info:
; codeLenInByte = 11204
; NumSgprs: 24
; NumVgprs: 235
; ScratchSize: 0
; MemoryBound: 0
; FloatMode: 240
; IeeeMode: 1
; LDSByteSize: 23040 bytes/workgroup (compile time only)
; SGPRBlocks: 2
; VGPRBlocks: 58
; NumSGPRsForWavesPerEU: 24
; NumVGPRsForWavesPerEU: 235
; Occupancy: 1
; WaveLimiterHint : 1
; COMPUTE_PGM_RSRC2:SCRATCH_EN: 0
; COMPUTE_PGM_RSRC2:USER_SGPR: 6
; COMPUTE_PGM_RSRC2:TRAP_HANDLER: 0
; COMPUTE_PGM_RSRC2:TGID_X_EN: 1
; COMPUTE_PGM_RSRC2:TGID_Y_EN: 0
; COMPUTE_PGM_RSRC2:TGID_Z_EN: 0
; COMPUTE_PGM_RSRC2:TIDIG_COMP_CNT: 0
	.type	__hip_cuid_6db147945d7628b3,@object ; @__hip_cuid_6db147945d7628b3
	.section	.bss,"aw",@nobits
	.globl	__hip_cuid_6db147945d7628b3
__hip_cuid_6db147945d7628b3:
	.byte	0                               ; 0x0
	.size	__hip_cuid_6db147945d7628b3, 1

	.ident	"AMD clang version 19.0.0git (https://github.com/RadeonOpenCompute/llvm-project roc-6.4.0 25133 c7fe45cf4b819c5991fe208aaa96edf142730f1d)"
	.section	".note.GNU-stack","",@progbits
	.addrsig
	.addrsig_sym __hip_cuid_6db147945d7628b3
	.amdgpu_metadata
---
amdhsa.kernels:
  - .args:
      - .actual_access:  read_only
        .address_space:  global
        .offset:         0
        .size:           8
        .value_kind:     global_buffer
      - .actual_access:  read_only
        .address_space:  global
        .offset:         8
        .size:           8
        .value_kind:     global_buffer
      - .actual_access:  read_only
        .address_space:  global
        .offset:         16
        .size:           8
        .value_kind:     global_buffer
      - .actual_access:  read_only
        .address_space:  global
        .offset:         24
        .size:           8
        .value_kind:     global_buffer
      - .actual_access:  read_only
        .address_space:  global
        .offset:         32
        .size:           8
        .value_kind:     global_buffer
      - .offset:         40
        .size:           8
        .value_kind:     by_value
      - .address_space:  global
        .offset:         48
        .size:           8
        .value_kind:     global_buffer
      - .address_space:  global
        .offset:         56
        .size:           8
        .value_kind:     global_buffer
      - .address_space:  global
        .offset:         64
        .size:           8
        .value_kind:     global_buffer
      - .address_space:  global
        .offset:         72
        .size:           8
        .value_kind:     global_buffer
      - .offset:         80
        .size:           4
        .value_kind:     by_value
      - .address_space:  global
        .offset:         88
        .size:           8
        .value_kind:     global_buffer
      - .address_space:  global
        .offset:         96
        .size:           8
        .value_kind:     global_buffer
    .group_segment_fixed_size: 23040
    .kernarg_segment_align: 8
    .kernarg_segment_size: 104
    .language:       OpenCL C
    .language_version:
      - 2
      - 0
    .max_flat_workgroup_size: 120
    .name:           bluestein_single_back_len288_dim1_dp_op_CI_CI
    .private_segment_fixed_size: 0
    .sgpr_count:     24
    .sgpr_spill_count: 0
    .symbol:         bluestein_single_back_len288_dim1_dp_op_CI_CI.kd
    .uniform_work_group_size: 1
    .uses_dynamic_stack: false
    .vgpr_count:     235
    .vgpr_spill_count: 0
    .wavefront_size: 64
amdhsa.target:   amdgcn-amd-amdhsa--gfx906
amdhsa.version:
  - 1
  - 2
...

	.end_amdgpu_metadata
